;; amdgpu-corpus repo=ROCm/rocFFT kind=compiled arch=gfx1030 opt=O3
	.text
	.amdgcn_target "amdgcn-amd-amdhsa--gfx1030"
	.amdhsa_code_object_version 6
	.protected	fft_rtc_back_len1200_factors_5_5_16_3_wgs_225_tpt_75_halfLds_dp_ip_CI_unitstride_sbrr_C2R_dirReg ; -- Begin function fft_rtc_back_len1200_factors_5_5_16_3_wgs_225_tpt_75_halfLds_dp_ip_CI_unitstride_sbrr_C2R_dirReg
	.globl	fft_rtc_back_len1200_factors_5_5_16_3_wgs_225_tpt_75_halfLds_dp_ip_CI_unitstride_sbrr_C2R_dirReg
	.p2align	8
	.type	fft_rtc_back_len1200_factors_5_5_16_3_wgs_225_tpt_75_halfLds_dp_ip_CI_unitstride_sbrr_C2R_dirReg,@function
fft_rtc_back_len1200_factors_5_5_16_3_wgs_225_tpt_75_halfLds_dp_ip_CI_unitstride_sbrr_C2R_dirReg: ; @fft_rtc_back_len1200_factors_5_5_16_3_wgs_225_tpt_75_halfLds_dp_ip_CI_unitstride_sbrr_C2R_dirReg
; %bb.0:
	s_load_dwordx4 s[8:11], s[4:5], 0x0
	v_mul_u32_u24_e32 v1, 0x36a, v0
	s_clause 0x1
	s_load_dwordx2 s[2:3], s[4:5], 0x50
	s_load_dwordx2 s[12:13], s[4:5], 0x18
	v_mov_b32_e32 v5, 0
	v_mov_b32_e32 v3, 0
	;; [unrolled: 1-line block ×3, first 2 shown]
	v_lshrrev_b32_e32 v1, 16, v1
	v_mad_u64_u32 v[1:2], null, s6, 3, v[1:2]
	v_mov_b32_e32 v2, v5
	v_mov_b32_e32 v10, v2
	;; [unrolled: 1-line block ×3, first 2 shown]
	s_waitcnt lgkmcnt(0)
	v_cmp_lt_u64_e64 s0, s[10:11], 2
	s_and_b32 vcc_lo, exec_lo, s0
	s_cbranch_vccnz .LBB0_8
; %bb.1:
	s_load_dwordx2 s[0:1], s[4:5], 0x10
	v_mov_b32_e32 v3, 0
	v_mov_b32_e32 v8, v2
	s_add_u32 s6, s12, 8
	v_mov_b32_e32 v4, 0
	v_mov_b32_e32 v7, v1
	s_addc_u32 s7, s13, 0
	s_mov_b64 s[16:17], 1
	s_waitcnt lgkmcnt(0)
	s_add_u32 s14, s0, 8
	s_addc_u32 s15, s1, 0
.LBB0_2:                                ; =>This Inner Loop Header: Depth=1
	s_load_dwordx2 s[18:19], s[14:15], 0x0
                                        ; implicit-def: $vgpr9_vgpr10
	s_mov_b32 s0, exec_lo
	s_waitcnt lgkmcnt(0)
	v_or_b32_e32 v6, s19, v8
	v_cmpx_ne_u64_e32 0, v[5:6]
	s_xor_b32 s1, exec_lo, s0
	s_cbranch_execz .LBB0_4
; %bb.3:                                ;   in Loop: Header=BB0_2 Depth=1
	v_cvt_f32_u32_e32 v2, s18
	v_cvt_f32_u32_e32 v6, s19
	s_sub_u32 s0, 0, s18
	s_subb_u32 s20, 0, s19
	v_fmac_f32_e32 v2, 0x4f800000, v6
	v_rcp_f32_e32 v2, v2
	v_mul_f32_e32 v2, 0x5f7ffffc, v2
	v_mul_f32_e32 v6, 0x2f800000, v2
	v_trunc_f32_e32 v6, v6
	v_fmac_f32_e32 v2, 0xcf800000, v6
	v_cvt_u32_f32_e32 v6, v6
	v_cvt_u32_f32_e32 v2, v2
	v_mul_lo_u32 v9, s0, v6
	v_mul_hi_u32 v10, s0, v2
	v_mul_lo_u32 v11, s20, v2
	v_add_nc_u32_e32 v9, v10, v9
	v_mul_lo_u32 v10, s0, v2
	v_add_nc_u32_e32 v9, v9, v11
	v_mul_hi_u32 v11, v2, v10
	v_mul_lo_u32 v12, v2, v9
	v_mul_hi_u32 v13, v2, v9
	v_mul_hi_u32 v14, v6, v10
	v_mul_lo_u32 v10, v6, v10
	v_mul_hi_u32 v15, v6, v9
	v_mul_lo_u32 v9, v6, v9
	v_add_co_u32 v11, vcc_lo, v11, v12
	v_add_co_ci_u32_e32 v12, vcc_lo, 0, v13, vcc_lo
	v_add_co_u32 v10, vcc_lo, v11, v10
	v_add_co_ci_u32_e32 v10, vcc_lo, v12, v14, vcc_lo
	v_add_co_ci_u32_e32 v11, vcc_lo, 0, v15, vcc_lo
	v_add_co_u32 v9, vcc_lo, v10, v9
	v_add_co_ci_u32_e32 v10, vcc_lo, 0, v11, vcc_lo
	v_add_co_u32 v2, vcc_lo, v2, v9
	v_add_co_ci_u32_e32 v6, vcc_lo, v6, v10, vcc_lo
	v_mul_hi_u32 v9, s0, v2
	v_mul_lo_u32 v11, s20, v2
	v_mul_lo_u32 v10, s0, v6
	v_add_nc_u32_e32 v9, v9, v10
	v_mul_lo_u32 v10, s0, v2
	v_add_nc_u32_e32 v9, v9, v11
	v_mul_hi_u32 v11, v2, v10
	v_mul_lo_u32 v12, v2, v9
	v_mul_hi_u32 v13, v2, v9
	v_mul_hi_u32 v14, v6, v10
	v_mul_lo_u32 v10, v6, v10
	v_mul_hi_u32 v15, v6, v9
	v_mul_lo_u32 v9, v6, v9
	v_add_co_u32 v11, vcc_lo, v11, v12
	v_add_co_ci_u32_e32 v12, vcc_lo, 0, v13, vcc_lo
	v_add_co_u32 v10, vcc_lo, v11, v10
	v_add_co_ci_u32_e32 v10, vcc_lo, v12, v14, vcc_lo
	v_add_co_ci_u32_e32 v11, vcc_lo, 0, v15, vcc_lo
	v_add_co_u32 v9, vcc_lo, v10, v9
	v_add_co_ci_u32_e32 v10, vcc_lo, 0, v11, vcc_lo
	v_add_co_u32 v2, vcc_lo, v2, v9
	v_add_co_ci_u32_e32 v6, vcc_lo, v6, v10, vcc_lo
	v_mul_hi_u32 v15, v7, v2
	v_mad_u64_u32 v[11:12], null, v8, v2, 0
	v_mad_u64_u32 v[9:10], null, v7, v6, 0
	v_mad_u64_u32 v[13:14], null, v8, v6, 0
	v_add_co_u32 v2, vcc_lo, v15, v9
	v_add_co_ci_u32_e32 v6, vcc_lo, 0, v10, vcc_lo
	v_add_co_u32 v2, vcc_lo, v2, v11
	v_add_co_ci_u32_e32 v2, vcc_lo, v6, v12, vcc_lo
	v_add_co_ci_u32_e32 v6, vcc_lo, 0, v14, vcc_lo
	v_add_co_u32 v2, vcc_lo, v2, v13
	v_add_co_ci_u32_e32 v6, vcc_lo, 0, v6, vcc_lo
	v_mul_lo_u32 v11, s19, v2
	v_mad_u64_u32 v[9:10], null, s18, v2, 0
	v_mul_lo_u32 v12, s18, v6
	v_sub_co_u32 v9, vcc_lo, v7, v9
	v_add3_u32 v10, v10, v12, v11
	v_sub_nc_u32_e32 v11, v8, v10
	v_subrev_co_ci_u32_e64 v11, s0, s19, v11, vcc_lo
	v_add_co_u32 v12, s0, v2, 2
	v_add_co_ci_u32_e64 v13, s0, 0, v6, s0
	v_sub_co_u32 v14, s0, v9, s18
	v_sub_co_ci_u32_e32 v10, vcc_lo, v8, v10, vcc_lo
	v_subrev_co_ci_u32_e64 v11, s0, 0, v11, s0
	v_cmp_le_u32_e32 vcc_lo, s18, v14
	v_cmp_eq_u32_e64 s0, s19, v10
	v_cndmask_b32_e64 v14, 0, -1, vcc_lo
	v_cmp_le_u32_e32 vcc_lo, s19, v11
	v_cndmask_b32_e64 v15, 0, -1, vcc_lo
	v_cmp_le_u32_e32 vcc_lo, s18, v9
	;; [unrolled: 2-line block ×3, first 2 shown]
	v_cndmask_b32_e64 v16, 0, -1, vcc_lo
	v_cmp_eq_u32_e32 vcc_lo, s19, v11
	v_cndmask_b32_e64 v9, v16, v9, s0
	v_cndmask_b32_e32 v11, v15, v14, vcc_lo
	v_add_co_u32 v14, vcc_lo, v2, 1
	v_add_co_ci_u32_e32 v15, vcc_lo, 0, v6, vcc_lo
	v_cmp_ne_u32_e32 vcc_lo, 0, v11
	v_cndmask_b32_e32 v10, v15, v13, vcc_lo
	v_cndmask_b32_e32 v11, v14, v12, vcc_lo
	v_cmp_ne_u32_e32 vcc_lo, 0, v9
	v_cndmask_b32_e32 v10, v6, v10, vcc_lo
	v_cndmask_b32_e32 v9, v2, v11, vcc_lo
.LBB0_4:                                ;   in Loop: Header=BB0_2 Depth=1
	s_andn2_saveexec_b32 s0, s1
	s_cbranch_execz .LBB0_6
; %bb.5:                                ;   in Loop: Header=BB0_2 Depth=1
	v_cvt_f32_u32_e32 v2, s18
	s_sub_i32 s1, 0, s18
	v_rcp_iflag_f32_e32 v2, v2
	v_mul_f32_e32 v2, 0x4f7ffffe, v2
	v_cvt_u32_f32_e32 v2, v2
	v_mul_lo_u32 v6, s1, v2
	v_mul_hi_u32 v6, v2, v6
	v_add_nc_u32_e32 v2, v2, v6
	v_mul_hi_u32 v2, v7, v2
	v_mul_lo_u32 v6, v2, s18
	v_add_nc_u32_e32 v9, 1, v2
	v_sub_nc_u32_e32 v6, v7, v6
	v_subrev_nc_u32_e32 v10, s18, v6
	v_cmp_le_u32_e32 vcc_lo, s18, v6
	v_cndmask_b32_e32 v6, v6, v10, vcc_lo
	v_cndmask_b32_e32 v2, v2, v9, vcc_lo
	v_mov_b32_e32 v10, v5
	v_cmp_le_u32_e32 vcc_lo, s18, v6
	v_add_nc_u32_e32 v9, 1, v2
	v_cndmask_b32_e32 v9, v2, v9, vcc_lo
.LBB0_6:                                ;   in Loop: Header=BB0_2 Depth=1
	s_or_b32 exec_lo, exec_lo, s0
	s_load_dwordx2 s[0:1], s[6:7], 0x0
	v_mul_lo_u32 v2, v10, s18
	v_mul_lo_u32 v6, v9, s19
	v_mad_u64_u32 v[11:12], null, v9, s18, 0
	s_add_u32 s16, s16, 1
	s_addc_u32 s17, s17, 0
	s_add_u32 s6, s6, 8
	s_addc_u32 s7, s7, 0
	;; [unrolled: 2-line block ×3, first 2 shown]
	v_add3_u32 v2, v12, v6, v2
	v_sub_co_u32 v6, vcc_lo, v7, v11
	v_sub_co_ci_u32_e32 v2, vcc_lo, v8, v2, vcc_lo
	s_waitcnt lgkmcnt(0)
	v_mul_lo_u32 v7, s1, v6
	v_mul_lo_u32 v2, s0, v2
	v_mad_u64_u32 v[3:4], null, s0, v6, v[3:4]
	v_cmp_ge_u64_e64 s0, s[16:17], s[10:11]
	s_and_b32 vcc_lo, exec_lo, s0
	v_add3_u32 v4, v7, v4, v2
	s_cbranch_vccnz .LBB0_8
; %bb.7:                                ;   in Loop: Header=BB0_2 Depth=1
	v_mov_b32_e32 v7, v9
	v_mov_b32_e32 v8, v10
	s_branch .LBB0_2
.LBB0_8:
	s_lshl_b64 s[0:1], s[10:11], 3
	v_mul_hi_u32 v2, 0xaaaaaaab, v1
	s_add_u32 s0, s12, s0
	s_addc_u32 s1, s13, s1
	s_load_dwordx2 s[4:5], s[4:5], 0x20
	s_load_dwordx2 s[0:1], s[0:1], 0x0
	v_mul_hi_u32 v5, 0x369d037, v0
	v_lshrrev_b32_e32 v2, 1, v2
	v_lshl_add_u32 v6, v2, 1, v2
	v_sub_nc_u32_e32 v1, v1, v6
	s_waitcnt lgkmcnt(0)
	v_cmp_gt_u64_e32 vcc_lo, s[4:5], v[9:10]
	v_mul_lo_u32 v7, s0, v10
	v_mul_lo_u32 v8, s1, v9
	v_mad_u64_u32 v[2:3], null, s0, v9, v[3:4]
	v_mul_u32_u24_e32 v4, 0x4b, v5
	v_mul_u32_u24_e32 v149, 0x4b1, v1
	v_sub_nc_u32_e32 v144, v0, v4
	v_add3_u32 v3, v8, v3, v7
	v_lshlrev_b32_e32 v150, 4, v149
	v_lshlrev_b64 v[146:147], 4, v[2:3]
	s_and_saveexec_b32 s1, vcc_lo
	s_cbranch_execz .LBB0_12
; %bb.9:
	v_mov_b32_e32 v145, 0
	v_add_co_u32 v0, s0, s2, v146
	v_add_co_ci_u32_e64 v1, s0, s3, v147, s0
	v_lshlrev_b64 v[2:3], 4, v[144:145]
	s_mov_b32 s4, exec_lo
	v_add_co_u32 v11, s0, v0, v2
	v_add_co_ci_u32_e64 v12, s0, v1, v3, s0
	v_lshlrev_b32_e32 v2, 4, v144
	v_add_co_u32 v15, s0, 0x800, v11
	v_add_co_ci_u32_e64 v16, s0, 0, v12, s0
	v_add_co_u32 v23, s0, 0x1000, v11
	v_add_co_ci_u32_e64 v24, s0, 0, v12, s0
	;; [unrolled: 2-line block ×8, first 2 shown]
	s_clause 0xf
	global_load_dwordx4 v[3:6], v[11:12], off
	global_load_dwordx4 v[7:10], v[11:12], off offset:1200
	global_load_dwordx4 v[11:14], v[15:16], off offset:352
	global_load_dwordx4 v[15:18], v[15:16], off offset:1552
	global_load_dwordx4 v[19:22], v[23:24], off offset:704
	global_load_dwordx4 v[23:26], v[23:24], off offset:1904
	global_load_dwordx4 v[27:30], v[27:28], off offset:1056
	global_load_dwordx4 v[31:34], v[35:36], off offset:208
	global_load_dwordx4 v[35:38], v[35:36], off offset:1408
	global_load_dwordx4 v[39:42], v[43:44], off offset:560
	global_load_dwordx4 v[43:46], v[43:44], off offset:1760
	global_load_dwordx4 v[47:50], v[47:48], off offset:912
	global_load_dwordx4 v[51:54], v[55:56], off offset:64
	global_load_dwordx4 v[55:58], v[55:56], off offset:1264
	global_load_dwordx4 v[59:62], v[63:64], off offset:416
	global_load_dwordx4 v[63:66], v[63:64], off offset:1616
	v_add3_u32 v2, 0, v150, v2
	s_waitcnt vmcnt(15)
	ds_write_b128 v2, v[3:6]
	s_waitcnt vmcnt(14)
	ds_write_b128 v2, v[7:10] offset:1200
	s_waitcnt vmcnt(13)
	ds_write_b128 v2, v[11:14] offset:2400
	;; [unrolled: 2-line block ×15, first 2 shown]
	v_cmpx_eq_u32_e32 0x4a, v144
	s_cbranch_execz .LBB0_11
; %bb.10:
	v_add_co_u32 v0, s0, 0x4800, v0
	v_add_co_ci_u32_e64 v1, s0, 0, v1, s0
	v_mov_b32_e32 v144, 0x4a
	global_load_dwordx4 v[3:6], v[0:1], off offset:768
	s_waitcnt vmcnt(0)
	ds_write_b128 v2, v[3:6] offset:18016
.LBB0_11:
	s_or_b32 exec_lo, exec_lo, s4
.LBB0_12:
	s_or_b32 exec_lo, exec_lo, s1
	v_lshl_add_u32 v148, v149, 4, 0
	v_lshlrev_b32_e32 v0, 4, v144
	s_waitcnt lgkmcnt(0)
	s_barrier
	buffer_gl0_inv
	s_add_u32 s1, s8, 0x4ab0
	v_add_nc_u32_e32 v151, v148, v0
	v_sub_nc_u32_e32 v10, v148, v0
	s_addc_u32 s4, s9, 0
	s_mov_b32 s5, exec_lo
	ds_read_b64 v[6:7], v151
	ds_read_b64 v[8:9], v10 offset:19200
                                        ; implicit-def: $vgpr4_vgpr5
	s_waitcnt lgkmcnt(0)
	v_add_f64 v[0:1], v[6:7], v[8:9]
	v_add_f64 v[2:3], v[6:7], -v[8:9]
	v_cmpx_ne_u32_e32 0, v144
	s_xor_b32 s5, exec_lo, s5
	s_cbranch_execz .LBB0_14
; %bb.13:
	v_mov_b32_e32 v145, 0
	v_add_f64 v[13:14], v[6:7], v[8:9]
	v_add_f64 v[15:16], v[6:7], -v[8:9]
	v_lshlrev_b64 v[0:1], 4, v[144:145]
	v_add_co_u32 v0, s0, s1, v0
	v_add_co_ci_u32_e64 v1, s0, s4, v1, s0
	global_load_dwordx4 v[2:5], v[0:1], off
	ds_read_b64 v[0:1], v10 offset:19208
	ds_read_b64 v[11:12], v151 offset:8
	s_waitcnt lgkmcnt(0)
	v_add_f64 v[6:7], v[0:1], v[11:12]
	v_add_f64 v[0:1], v[11:12], -v[0:1]
	s_waitcnt vmcnt(0)
	v_fma_f64 v[8:9], v[15:16], v[4:5], v[13:14]
	v_fma_f64 v[11:12], -v[15:16], v[4:5], v[13:14]
	v_fma_f64 v[13:14], v[6:7], v[4:5], -v[0:1]
	v_fma_f64 v[4:5], v[6:7], v[4:5], v[0:1]
	v_fma_f64 v[0:1], -v[6:7], v[2:3], v[8:9]
	v_fma_f64 v[6:7], v[6:7], v[2:3], v[11:12]
	v_fma_f64 v[8:9], v[15:16], v[2:3], v[13:14]
	;; [unrolled: 1-line block ×3, first 2 shown]
	v_mov_b32_e32 v4, v144
	v_mov_b32_e32 v5, v145
	ds_write_b128 v10, v[6:9] offset:19200
.LBB0_14:
	s_andn2_saveexec_b32 s0, s5
	s_cbranch_execz .LBB0_16
; %bb.15:
	ds_read_b128 v[4:7], v148 offset:9600
	s_waitcnt lgkmcnt(0)
	v_add_f64 v[11:12], v[4:5], v[4:5]
	v_mul_f64 v[13:14], v[6:7], -2.0
	v_mov_b32_e32 v4, 0
	v_mov_b32_e32 v5, 0
	ds_write_b128 v148, v[11:14] offset:9600
.LBB0_16:
	s_or_b32 exec_lo, exec_lo, s0
	v_lshlrev_b64 v[4:5], 4, v[4:5]
	v_lshl_add_u32 v145, v144, 4, 0
	s_mov_b32 s10, 0x134454ff
	s_mov_b32 s11, 0xbfee6f0e
	;; [unrolled: 1-line block ×4, first 2 shown]
	v_add_co_u32 v27, s0, s1, v4
	v_add_co_ci_u32_e64 v28, s0, s4, v5, s0
	v_add_nc_u32_e32 v152, v145, v150
	v_add_co_u32 v8, s0, 0x800, v27
	global_load_dwordx4 v[4:7], v[27:28], off offset:1200
	v_add_co_ci_u32_e64 v9, s0, 0, v28, s0
	v_add_co_u32 v29, s0, 0x1000, v27
	s_clause 0x1
	global_load_dwordx4 v[11:14], v[8:9], off offset:352
	global_load_dwordx4 v[15:18], v[8:9], off offset:1552
	v_add_co_ci_u32_e64 v30, s0, 0, v28, s0
	ds_write_b128 v151, v[0:3]
	ds_read_b128 v[0:3], v151 offset:1200
	ds_read_b128 v[19:22], v10 offset:18000
	s_mov_b32 s4, 0x4755a5e
	global_load_dwordx4 v[23:26], v[29:30], off offset:704
	s_mov_b32 s5, 0xbfe2cf23
	s_mov_b32 s7, 0x3fe2cf23
	;; [unrolled: 1-line block ×3, first 2 shown]
	v_mad_u32_u24 v191, 0x50, v144, 0
	s_waitcnt lgkmcnt(0)
	v_add_f64 v[8:9], v[0:1], v[19:20]
	v_add_f64 v[31:32], v[21:22], v[2:3]
	v_add_f64 v[19:20], v[0:1], -v[19:20]
	v_add_f64 v[0:1], v[2:3], -v[21:22]
	s_waitcnt vmcnt(3)
	v_fma_f64 v[2:3], v[19:20], v[6:7], v[8:9]
	v_fma_f64 v[21:22], v[31:32], v[6:7], v[0:1]
	v_fma_f64 v[8:9], -v[19:20], v[6:7], v[8:9]
	v_fma_f64 v[33:34], v[31:32], v[6:7], -v[0:1]
	v_fma_f64 v[0:1], -v[31:32], v[4:5], v[2:3]
	v_fma_f64 v[2:3], v[19:20], v[4:5], v[21:22]
	v_fma_f64 v[6:7], v[31:32], v[4:5], v[8:9]
	;; [unrolled: 1-line block ×3, first 2 shown]
	ds_write_b128 v151, v[0:3] offset:1200
	ds_write_b128 v10, v[6:9] offset:18000
	ds_read_b128 v[0:3], v151 offset:2400
	ds_read_b128 v[4:7], v10 offset:16800
	global_load_dwordx4 v[19:22], v[29:30], off offset:1904
	s_waitcnt lgkmcnt(0)
	v_add_f64 v[8:9], v[0:1], v[4:5]
	v_add_f64 v[29:30], v[6:7], v[2:3]
	v_add_f64 v[31:32], v[0:1], -v[4:5]
	v_add_f64 v[0:1], v[2:3], -v[6:7]
	s_waitcnt vmcnt(3)
	v_fma_f64 v[2:3], v[31:32], v[13:14], v[8:9]
	v_fma_f64 v[4:5], v[29:30], v[13:14], v[0:1]
	v_fma_f64 v[6:7], -v[31:32], v[13:14], v[8:9]
	v_fma_f64 v[8:9], v[29:30], v[13:14], -v[0:1]
	v_fma_f64 v[0:1], -v[29:30], v[11:12], v[2:3]
	v_fma_f64 v[2:3], v[31:32], v[11:12], v[4:5]
	v_fma_f64 v[4:5], v[29:30], v[11:12], v[6:7]
	;; [unrolled: 1-line block ×3, first 2 shown]
	v_add_co_u32 v8, s0, 0x1800, v27
	v_add_co_ci_u32_e64 v9, s0, 0, v28, s0
	ds_write_b128 v151, v[0:3] offset:2400
	ds_write_b128 v10, v[4:7] offset:16800
	ds_read_b128 v[0:3], v151 offset:3600
	ds_read_b128 v[4:7], v10 offset:15600
	global_load_dwordx4 v[11:14], v[8:9], off offset:1056
	s_waitcnt lgkmcnt(0)
	v_add_f64 v[8:9], v[0:1], v[4:5]
	v_add_f64 v[29:30], v[6:7], v[2:3]
	v_add_f64 v[31:32], v[0:1], -v[4:5]
	v_add_f64 v[0:1], v[2:3], -v[6:7]
	s_waitcnt vmcnt(3)
	v_fma_f64 v[2:3], v[31:32], v[17:18], v[8:9]
	v_fma_f64 v[4:5], v[29:30], v[17:18], v[0:1]
	v_fma_f64 v[6:7], -v[31:32], v[17:18], v[8:9]
	v_fma_f64 v[8:9], v[29:30], v[17:18], -v[0:1]
	v_fma_f64 v[0:1], -v[29:30], v[15:16], v[2:3]
	v_fma_f64 v[2:3], v[31:32], v[15:16], v[4:5]
	v_fma_f64 v[4:5], v[29:30], v[15:16], v[6:7]
	v_fma_f64 v[6:7], v[31:32], v[15:16], v[8:9]
	v_add_co_u32 v8, s0, 0x2000, v27
	v_add_co_ci_u32_e64 v9, s0, 0, v28, s0
	s_mov_b32 s0, 0x372fe950
	s_mov_b32 s1, 0x3fd3c6ef
	ds_write_b128 v151, v[0:3] offset:3600
	ds_write_b128 v10, v[4:7] offset:15600
	ds_read_b128 v[0:3], v151 offset:4800
	ds_read_b128 v[4:7], v10 offset:14400
	global_load_dwordx4 v[15:18], v[8:9], off offset:208
	s_waitcnt lgkmcnt(0)
	v_add_f64 v[8:9], v[0:1], v[4:5]
	v_add_f64 v[27:28], v[6:7], v[2:3]
	v_add_f64 v[29:30], v[0:1], -v[4:5]
	v_add_f64 v[0:1], v[2:3], -v[6:7]
	s_waitcnt vmcnt(3)
	v_fma_f64 v[2:3], v[29:30], v[25:26], v[8:9]
	v_fma_f64 v[4:5], v[27:28], v[25:26], v[0:1]
	v_fma_f64 v[6:7], -v[29:30], v[25:26], v[8:9]
	v_fma_f64 v[8:9], v[27:28], v[25:26], -v[0:1]
	v_fma_f64 v[0:1], -v[27:28], v[23:24], v[2:3]
	v_fma_f64 v[2:3], v[29:30], v[23:24], v[4:5]
	v_fma_f64 v[4:5], v[27:28], v[23:24], v[6:7]
	v_fma_f64 v[6:7], v[29:30], v[23:24], v[8:9]
	ds_write_b128 v151, v[0:3] offset:4800
	ds_write_b128 v10, v[4:7] offset:14400
	ds_read_b128 v[0:3], v151 offset:6000
	ds_read_b128 v[4:7], v10 offset:13200
	s_waitcnt lgkmcnt(0)
	v_add_f64 v[8:9], v[0:1], v[4:5]
	v_add_f64 v[23:24], v[6:7], v[2:3]
	v_add_f64 v[25:26], v[0:1], -v[4:5]
	v_add_f64 v[0:1], v[2:3], -v[6:7]
	s_waitcnt vmcnt(2)
	v_fma_f64 v[2:3], v[25:26], v[21:22], v[8:9]
	v_fma_f64 v[4:5], v[23:24], v[21:22], v[0:1]
	v_fma_f64 v[6:7], -v[25:26], v[21:22], v[8:9]
	v_fma_f64 v[8:9], v[23:24], v[21:22], -v[0:1]
	v_fma_f64 v[0:1], -v[23:24], v[19:20], v[2:3]
	v_fma_f64 v[2:3], v[25:26], v[19:20], v[4:5]
	v_fma_f64 v[4:5], v[23:24], v[19:20], v[6:7]
	v_fma_f64 v[6:7], v[25:26], v[19:20], v[8:9]
	ds_write_b128 v151, v[0:3] offset:6000
	ds_write_b128 v10, v[4:7] offset:13200
	ds_read_b128 v[0:3], v151 offset:7200
	ds_read_b128 v[4:7], v10 offset:12000
	;; [unrolled: 18-line block ×3, first 2 shown]
	s_waitcnt lgkmcnt(0)
	v_add_f64 v[8:9], v[0:1], v[4:5]
	v_add_f64 v[11:12], v[6:7], v[2:3]
	v_add_f64 v[13:14], v[0:1], -v[4:5]
	v_add_f64 v[0:1], v[2:3], -v[6:7]
	s_waitcnt vmcnt(0)
	v_fma_f64 v[2:3], v[13:14], v[17:18], v[8:9]
	v_fma_f64 v[4:5], v[11:12], v[17:18], v[0:1]
	v_fma_f64 v[6:7], -v[13:14], v[17:18], v[8:9]
	v_fma_f64 v[8:9], v[11:12], v[17:18], -v[0:1]
	v_fma_f64 v[0:1], -v[11:12], v[15:16], v[2:3]
	v_fma_f64 v[2:3], v[13:14], v[15:16], v[4:5]
	v_fma_f64 v[4:5], v[11:12], v[15:16], v[6:7]
	;; [unrolled: 1-line block ×3, first 2 shown]
	ds_write_b128 v151, v[0:3] offset:8400
	ds_write_b128 v10, v[4:7] offset:10800
	s_waitcnt lgkmcnt(0)
	s_barrier
	buffer_gl0_inv
	s_barrier
	buffer_gl0_inv
	ds_read_b128 v[0:3], v152 offset:3840
	ds_read_b128 v[4:7], v151
	ds_read_b128 v[8:11], v152 offset:7680
	ds_read_b128 v[12:15], v152 offset:11520
	;; [unrolled: 1-line block ×18, first 2 shown]
	s_waitcnt lgkmcnt(0)
	s_barrier
	buffer_gl0_inv
	v_add_f64 v[114:115], v[18:19], v[22:23]
	v_add_f64 v[112:113], v[16:17], v[20:21]
	;; [unrolled: 1-line block ×3, first 2 shown]
	v_add_f64 v[118:119], v[26:27], -v[30:31]
	v_add_f64 v[124:125], v[26:27], v[30:31]
	v_add_f64 v[128:129], v[22:23], -v[26:27]
	v_add_f64 v[130:131], v[26:27], -v[22:23]
	;; [unrolled: 1-line block ×3, first 2 shown]
	v_add_f64 v[134:135], v[20:21], v[36:37]
	v_add_f64 v[22:23], v[22:23], v[38:39]
	;; [unrolled: 1-line block ×6, first 2 shown]
	v_add_f64 v[88:89], v[0:1], -v[8:9]
	v_add_f64 v[90:91], v[8:9], -v[0:1]
	v_add_f64 v[92:93], v[10:11], v[14:15]
	v_add_f64 v[104:105], v[0:1], -v[32:33]
	v_add_f64 v[0:1], v[2:3], v[34:35]
	v_add_f64 v[153:154], v[40:41], v[48:49]
	;; [unrolled: 1-line block ×5, first 2 shown]
	v_add_f64 v[169:170], v[50:51], -v[58:59]
	v_add_f64 v[171:172], v[58:59], -v[50:51]
	;; [unrolled: 1-line block ×3, first 2 shown]
	v_add_f64 v[175:176], v[48:49], v[72:73]
	v_add_f64 v[50:51], v[50:51], v[74:75]
	;; [unrolled: 1-line block ×8, first 2 shown]
	v_add_f64 v[86:87], v[10:11], -v[14:15]
	v_fma_f64 v[84:85], v[84:85], -0.5, v[4:5]
	v_fma_f64 v[4:5], v[102:103], -0.5, v[4:5]
	v_add_f64 v[102:103], v[52:53], v[76:77]
	v_add_f64 v[94:95], v[8:9], -v[12:13]
	v_add_f64 v[96:97], v[2:3], -v[10:11]
	;; [unrolled: 1-line block ×24, first 2 shown]
	v_add_f64 v[8:9], v[80:81], v[8:9]
	v_add_f64 v[10:11], v[82:83], v[10:11]
	v_add_f64 v[80:81], v[62:63], -v[70:71]
	v_add_f64 v[82:83], v[52:53], -v[60:61]
	v_add_f64 v[24:25], v[112:113], v[24:25]
	v_add_f64 v[112:113], v[60:61], -v[52:53]
	v_add_f64 v[56:57], v[153:154], v[56:57]
	v_add_f64 v[58:59], v[155:156], v[58:59]
	v_add_f64 v[153:154], v[60:61], -v[68:69]
	v_add_f64 v[155:156], v[54:55], -v[62:63]
	v_fma_f64 v[92:93], v[92:93], -0.5, v[6:7]
	v_fma_f64 v[6:7], v[0:1], -0.5, v[6:7]
	v_add_f64 v[60:61], v[181:182], v[60:61]
	v_add_f64 v[181:182], v[183:184], v[62:63]
	v_add_f64 v[62:63], v[62:63], -v[54:55]
	v_add_f64 v[54:55], v[54:55], -v[78:79]
	;; [unrolled: 1-line block ×4, first 2 shown]
	v_fma_f64 v[116:117], v[116:117], -0.5, v[16:17]
	v_fma_f64 v[16:17], v[134:135], -0.5, v[16:17]
	;; [unrolled: 1-line block ×4, first 2 shown]
	v_add_f64 v[22:23], v[76:77], -v[68:69]
	v_fma_f64 v[157:158], v[157:158], -0.5, v[40:41]
	v_fma_f64 v[40:41], v[175:176], -0.5, v[40:41]
	v_fma_f64 v[165:166], v[165:166], -0.5, v[42:43]
	v_fma_f64 v[42:43], v[50:51], -0.5, v[42:43]
	v_add_f64 v[50:51], v[68:69], -v[76:77]
	v_add_f64 v[175:176], v[70:71], -v[78:79]
	v_fma_f64 v[187:188], v[187:188], -0.5, v[44:45]
	v_fma_f64 v[44:45], v[102:103], -0.5, v[44:45]
	;; [unrolled: 1-line block ×4, first 2 shown]
	v_add_f64 v[134:135], v[78:79], -v[70:71]
	v_add_f64 v[88:89], v[88:89], v[2:3]
	v_add_f64 v[96:97], v[96:97], v[108:109]
	;; [unrolled: 1-line block ×23, first 2 shown]
	v_fma_f64 v[50:51], v[100:101], s[10:11], v[84:85]
	v_fma_f64 v[56:57], v[104:105], s[12:13], v[92:93]
	;; [unrolled: 1-line block ×27, first 2 shown]
	v_add_f64 v[134:135], v[155:156], v[134:135]
	v_fma_f64 v[140:141], v[173:174], s[12:13], v[157:158]
	v_fma_f64 v[155:156], v[159:160], s[12:13], v[40:41]
	;; [unrolled: 1-line block ×5, first 2 shown]
	v_add_f64 v[1:2], v[1:2], v[32:33]
	v_add_f64 v[3:4], v[8:9], v[34:35]
	;; [unrolled: 1-line block ×7, first 2 shown]
	v_fma_f64 v[24:25], v[86:87], s[4:5], v[50:51]
	v_fma_f64 v[26:27], v[94:95], s[6:7], v[56:57]
	;; [unrolled: 1-line block ×32, first 2 shown]
	v_add_f64 v[14:15], v[14:15], v[38:39]
	v_fma_f64 v[36:37], v[88:89], s[0:1], v[24:25]
	v_fma_f64 v[38:39], v[96:97], s[0:1], v[26:27]
	;; [unrolled: 1-line block ×32, first 2 shown]
	v_add_nc_u32_e32 v0, 0x2ee0, v191
	v_cmp_gt_u32_e64 s0, 15, v144
	v_add_nc_u32_e32 v5, v191, v150
	v_add_nc_u32_e32 v6, v0, v150
	ds_write_b128 v5, v[1:4]
	ds_write_b128 v5, v[12:15] offset:6000
	ds_write_b128 v6, v[32:35]
	ds_write_b128 v5, v[36:39] offset:16
	ds_write_b128 v5, v[44:47] offset:32
	ds_write_b128 v5, v[48:51] offset:48
	ds_write_b128 v5, v[40:43] offset:64
	ds_write_b128 v5, v[52:55] offset:6016
	ds_write_b128 v5, v[60:63] offset:6032
	ds_write_b128 v5, v[64:67] offset:6048
	ds_write_b128 v5, v[56:59] offset:6064
	ds_write_b128 v6, v[68:71] offset:16
	ds_write_b128 v6, v[76:79] offset:32
	ds_write_b128 v6, v[80:83] offset:48
	ds_write_b128 v6, v[72:75] offset:64
	s_and_saveexec_b32 s1, s0
	s_cbranch_execz .LBB0_18
; %bb.17:
	v_lshl_add_u32 v0, v149, 4, v0
	v_add_nc_u32_e32 v1, 0x1000, v0
	ds_write_b128 v0, v[8:11] offset:6000
	ds_write2_b64 v1, v[16:17], v[18:19] offset0:240 offset1:241
	ds_write2_b64 v1, v[20:21], v[22:23] offset0:242 offset1:243
	;; [unrolled: 1-line block ×4, first 2 shown]
.LBB0_18:
	s_or_b32 exec_lo, exec_lo, s1
	s_waitcnt lgkmcnt(0)
	s_barrier
	buffer_gl0_inv
	ds_read_b128 v[12:15], v151
	ds_read_b128 v[4:7], v152 offset:1200
	ds_read_b128 v[68:71], v152 offset:7680
	;; [unrolled: 1-line block ×14, first 2 shown]
	s_and_saveexec_b32 s1, s0
	s_cbranch_execz .LBB0_20
; %bb.19:
	ds_read_b128 v[8:11], v152 offset:3600
	ds_read_b128 v[16:19], v152 offset:7440
	;; [unrolled: 1-line block ×5, first 2 shown]
.LBB0_20:
	s_or_b32 exec_lo, exec_lo, s1
	v_and_b32_e32 v156, 0xff, v144
	v_add_nc_u32_e32 v153, 0xe1, v144
	v_mov_b32_e32 v81, 0xcccd
	v_add_nc_u32_e32 v155, 0x4b, v144
	v_add_nc_u32_e32 v154, 0x96, v144
	v_mul_lo_u16 v80, 0xcd, v156
	v_mov_b32_e32 v96, 6
	s_mov_b32 s15, 0x3fee6f0e
	s_mov_b32 s14, s10
	;; [unrolled: 1-line block ×3, first 2 shown]
	v_lshrrev_b16 v157, 10, v80
	v_mul_u32_u24_sdwa v80, v153, v81 dst_sel:DWORD dst_unused:UNUSED_PAD src0_sel:WORD_0 src1_sel:DWORD
	v_and_b32_e32 v81, 0xff, v155
	s_mov_b32 s7, 0xbfe2cf23
	s_mov_b32 s13, 0x3fe2cf23
	v_mul_lo_u16 v82, v157, 5
	v_lshrrev_b32_e32 v80, 18, v80
	v_mul_lo_u16 v81, 0xcd, v81
	v_and_b32_e32 v164, 0xffff, v157
	v_mov_b32_e32 v157, 4
	v_sub_nc_u16 v160, v144, v82
	v_and_b32_e32 v82, 0xff, v154
	v_lshrrev_b16 v161, 10, v81
	v_mul_lo_u16 v80, v80, 5
	v_mad_u32_u24 v164, 0x190, v164, 0
	v_lshlrev_b32_sdwa v92, v96, v160 dst_sel:DWORD dst_unused:UNUSED_PAD src0_sel:DWORD src1_sel:BYTE_0
	v_mul_lo_u16 v84, 0xcd, v82
	v_mul_lo_u16 v93, v161, 5
	v_sub_nc_u16 v158, v153, v80
	v_and_b32_e32 v161, 0xffff, v161
	s_clause 0x1
	global_load_dwordx4 v[80:83], v92, s[8:9]
	global_load_dwordx4 v[88:91], v92, s[8:9] offset:16
	v_lshrrev_b16 v162, 10, v84
	v_sub_nc_u16 v163, v155, v93
	v_lshlrev_b32_sdwa v97, v96, v158 dst_sel:DWORD dst_unused:UNUSED_PAD src0_sel:DWORD src1_sel:WORD_0
	s_clause 0x1
	global_load_dwordx4 v[84:87], v92, s[8:9] offset:32
	global_load_dwordx4 v[92:95], v92, s[8:9] offset:48
	v_mul_lo_u16 v98, v162, 5
	v_lshlrev_b32_sdwa v99, v96, v163 dst_sel:DWORD dst_unused:UNUSED_PAD src0_sel:DWORD src1_sel:BYTE_0
	s_clause 0x5
	global_load_dwordx4 v[120:123], v97, s[8:9]
	global_load_dwordx4 v[108:111], v97, s[8:9] offset:16
	global_load_dwordx4 v[116:119], v97, s[8:9] offset:32
	;; [unrolled: 1-line block ×3, first 2 shown]
	global_load_dwordx4 v[136:139], v99, s[8:9]
	global_load_dwordx4 v[128:131], v99, s[8:9] offset:16
	v_sub_nc_u16 v159, v154, v98
	v_and_b32_e32 v162, 0xffff, v162
	v_lshlrev_b32_sdwa v160, v157, v160 dst_sel:DWORD dst_unused:UNUSED_PAD src0_sel:DWORD src1_sel:BYTE_0
	v_mad_u32_u24 v232, 0x190, v161, 0
	v_lshlrev_b32_sdwa v235, v157, v163 dst_sel:DWORD dst_unused:UNUSED_PAD src0_sel:DWORD src1_sel:BYTE_0
	v_lshlrev_b32_sdwa v96, v96, v159 dst_sel:DWORD dst_unused:UNUSED_PAD src0_sel:DWORD src1_sel:BYTE_0
	s_clause 0x5
	global_load_dwordx4 v[132:135], v99, s[8:9] offset:32
	global_load_dwordx4 v[124:127], v99, s[8:9] offset:48
	global_load_dwordx4 v[112:115], v96, s[8:9]
	global_load_dwordx4 v[104:107], v96, s[8:9] offset:16
	global_load_dwordx4 v[100:103], v96, s[8:9] offset:32
	;; [unrolled: 1-line block ×3, first 2 shown]
	v_mad_u32_u24 v233, 0x190, v162, 0
	v_add3_u32 v234, v164, v160, v150
	s_mov_b32 s12, s6
	s_mov_b32 s4, 0x372fe950
	;; [unrolled: 1-line block ×3, first 2 shown]
	s_waitcnt vmcnt(0) lgkmcnt(0)
	s_barrier
	buffer_gl0_inv
	v_mul_f64 v[160:161], v[74:75], v[82:83]
	v_mul_f64 v[82:83], v[72:73], v[82:83]
	;; [unrolled: 1-line block ×32, first 2 shown]
	v_fma_f64 v[72:73], v[72:73], v[80:81], v[160:161]
	v_fma_f64 v[74:75], v[74:75], v[80:81], -v[82:83]
	v_fma_f64 v[80:81], v[68:69], v[88:89], v[162:163]
	v_fma_f64 v[82:83], v[70:71], v[88:89], -v[90:91]
	;; [unrolled: 2-line block ×8, first 2 shown]
	v_fma_f64 v[58:59], v[58:59], v[136:137], -v[138:139]
	v_fma_f64 v[90:91], v[38:39], v[128:129], -v[130:131]
	;; [unrolled: 1-line block ×4, first 2 shown]
	v_fma_f64 v[56:57], v[56:57], v[136:137], v[176:177]
	v_fma_f64 v[88:89], v[36:37], v[128:129], v[178:179]
	;; [unrolled: 1-line block ×5, first 2 shown]
	v_fma_f64 v[34:35], v[46:47], v[112:113], -v[114:115]
	v_fma_f64 v[44:45], v[48:49], v[104:105], v[186:187]
	v_fma_f64 v[46:47], v[50:51], v[104:105], -v[106:107]
	v_fma_f64 v[48:49], v[52:53], v[100:101], v[188:189]
	v_fma_f64 v[50:51], v[54:55], v[100:101], -v[102:103]
	v_fma_f64 v[52:53], v[40:41], v[96:97], v[190:191]
	v_fma_f64 v[54:55], v[42:43], v[96:97], -v[98:99]
	v_add_f64 v[36:37], v[12:13], v[72:73]
	v_add_f64 v[38:39], v[80:81], v[76:77]
	v_add_f64 v[40:41], v[72:73], -v[80:81]
	v_add_f64 v[42:43], v[84:85], -v[76:77]
	v_add_f64 v[100:101], v[72:73], v[84:85]
	v_add_f64 v[102:103], v[80:81], -v[72:73]
	v_add_f64 v[104:105], v[76:77], -v[84:85]
	v_add_f64 v[106:107], v[14:15], v[74:75]
	v_add_f64 v[108:109], v[82:83], v[78:79]
	v_add_f64 v[112:113], v[74:75], -v[82:83]
	v_add_f64 v[114:115], v[86:87], -v[78:79]
	v_add_f64 v[116:117], v[74:75], v[86:87]
	v_add_f64 v[120:121], v[64:65], v[20:21]
	;; [unrolled: 1-line block ×8, first 2 shown]
	v_add_f64 v[96:97], v[74:75], -v[86:87]
	v_add_f64 v[74:75], v[82:83], -v[74:75]
	;; [unrolled: 1-line block ×3, first 2 shown]
	v_add_f64 v[160:161], v[88:89], v[60:61]
	v_add_f64 v[168:169], v[4:5], v[56:57]
	;; [unrolled: 1-line block ×3, first 2 shown]
	v_add_f64 v[122:123], v[68:69], -v[64:65]
	v_add_f64 v[124:125], v[16:17], -v[20:21]
	v_add_f64 v[128:129], v[64:65], -v[68:69]
	v_add_f64 v[130:131], v[20:21], -v[16:17]
	v_add_f64 v[170:171], v[58:59], -v[94:95]
	v_add_f64 v[184:185], v[58:59], -v[90:91]
	v_add_f64 v[58:59], v[90:91], -v[58:59]
	v_add_f64 v[188:189], v[62:63], -v[94:95]
	v_add_f64 v[192:193], v[44:45], v[48:49]
	v_add_f64 v[206:207], v[46:47], v[50:51]
	;; [unrolled: 1-line block ×5, first 2 shown]
	v_add_f64 v[98:99], v[82:83], -v[78:79]
	v_add_f64 v[72:73], v[72:73], -v[84:85]
	;; [unrolled: 1-line block ×14, first 2 shown]
	v_add_f64 v[204:205], v[2:3], v[34:35]
	v_add_f64 v[56:57], v[56:57], -v[92:93]
	v_add_f64 v[218:219], v[88:89], -v[60:61]
	v_fma_f64 v[228:229], v[38:39], -0.5, v[12:13]
	v_fma_f64 v[100:101], v[100:101], -0.5, v[12:13]
	;; [unrolled: 1-line block ×4, first 2 shown]
	v_add_f64 v[80:81], v[36:37], v[80:81]
	v_add_f64 v[230:231], v[40:41], v[42:43]
	v_add_f64 v[102:103], v[102:103], v[104:105]
	v_add_f64 v[82:83], v[106:107], v[82:83]
	v_add_f64 v[104:105], v[112:113], v[114:115]
	v_fma_f64 v[36:37], v[120:121], -0.5, v[8:9]
	v_fma_f64 v[38:39], v[126:127], -0.5, v[8:9]
	;; [unrolled: 1-line block ×6, first 2 shown]
	v_add_f64 v[90:91], v[182:183], v[90:91]
	v_add_f64 v[106:107], v[74:75], v[118:119]
	v_fma_f64 v[74:75], v[160:161], -0.5, v[4:5]
	v_add_f64 v[88:89], v[168:169], v[88:89]
	v_fma_f64 v[4:5], v[162:163], -0.5, v[4:5]
	v_add_f64 v[176:177], v[92:93], -v[60:61]
	v_add_f64 v[180:181], v[60:61], -v[92:93]
	;; [unrolled: 1-line block ×4, first 2 shown]
	v_add_f64 v[12:13], v[122:123], v[124:125]
	v_add_f64 v[14:15], v[128:129], v[130:131]
	;; [unrolled: 1-line block ×3, first 2 shown]
	v_fma_f64 v[58:59], v[192:193], -0.5, v[0:1]
	v_fma_f64 v[128:129], v[206:207], -0.5, v[2:3]
	v_add_f64 v[222:223], v[46:47], -v[50:51]
	v_add_f64 v[226:227], v[44:45], -v[48:49]
	v_fma_f64 v[0:1], v[198:199], -0.5, v[0:1]
	v_fma_f64 v[2:3], v[212:213], -0.5, v[2:3]
	v_add_f64 v[194:195], v[32:33], -v[44:45]
	v_add_f64 v[200:201], v[44:45], -v[32:33]
	v_add_f64 v[44:45], v[190:191], v[44:45]
	v_add_f64 v[186:187], v[94:95], -v[62:63]
	v_add_f64 v[208:209], v[34:35], -v[46:47]
	;; [unrolled: 1-line block ×3, first 2 shown]
	v_add_f64 v[32:33], v[134:135], v[136:137]
	v_add_f64 v[34:35], v[140:141], v[142:143]
	;; [unrolled: 1-line block ×4, first 2 shown]
	v_fma_f64 v[80:81], v[96:97], s[10:11], v[228:229]
	v_fma_f64 v[134:135], v[96:97], s[14:15], v[228:229]
	;; [unrolled: 1-line block ×3, first 2 shown]
	v_add_f64 v[78:79], v[82:83], v[78:79]
	v_fma_f64 v[82:83], v[98:99], s[10:11], v[100:101]
	v_fma_f64 v[100:101], v[72:73], s[14:15], v[108:109]
	;; [unrolled: 1-line block ×9, first 2 shown]
	v_add_f64 v[62:63], v[90:91], v[62:63]
	v_fma_f64 v[90:91], v[56:57], s[14:15], v[112:113]
	v_fma_f64 v[112:113], v[56:57], s[10:11], v[112:113]
	;; [unrolled: 1-line block ×4, first 2 shown]
	v_add_f64 v[60:61], v[88:89], v[60:61]
	v_fma_f64 v[88:89], v[170:171], s[10:11], v[74:75]
	v_fma_f64 v[164:165], v[172:173], s[14:15], v[4:5]
	;; [unrolled: 1-line block ×4, first 2 shown]
	v_add_f64 v[196:197], v[52:53], -v[48:49]
	v_add_f64 v[210:211], v[54:55], -v[50:51]
	v_add_f64 v[114:115], v[174:175], v[176:177]
	v_add_f64 v[118:119], v[178:179], v[180:181]
	v_fma_f64 v[174:175], v[220:221], s[10:11], v[58:59]
	v_fma_f64 v[180:181], v[224:225], s[14:15], v[128:129]
	v_add_f64 v[202:203], v[48:49], -v[52:53]
	v_add_f64 v[216:217], v[50:51], -v[54:55]
	v_fma_f64 v[176:177], v[222:223], s[14:15], v[0:1]
	v_fma_f64 v[182:183], v[226:227], s[10:11], v[2:3]
	v_add_f64 v[166:167], v[44:45], v[48:49]
	v_fma_f64 v[0:1], v[222:223], s[10:11], v[0:1]
	v_fma_f64 v[2:3], v[226:227], s[14:15], v[2:3]
	;; [unrolled: 1-line block ×4, first 2 shown]
	v_add_f64 v[120:121], v[184:185], v[186:187]
	v_add_f64 v[178:179], v[46:47], v[50:51]
	v_add_f64 v[44:45], v[76:77], v[84:85]
	v_add_f64 v[46:47], v[78:79], v[86:87]
	v_fma_f64 v[76:77], v[98:99], s[6:7], v[80:81]
	v_fma_f64 v[78:79], v[98:99], s[12:13], v[134:135]
	;; [unrolled: 1-line block ×9, first 2 shown]
	v_add_f64 v[50:51], v[62:63], v[94:95]
	v_fma_f64 v[94:95], v[218:219], s[6:7], v[112:113]
	v_fma_f64 v[6:7], v[56:57], s[6:7], v[6:7]
	;; [unrolled: 1-line block ×9, first 2 shown]
	v_add_f64 v[48:49], v[60:61], v[92:93]
	v_fma_f64 v[92:93], v[172:173], s[12:13], v[74:75]
	v_fma_f64 v[136:137], v[170:171], s[12:13], v[4:5]
	v_add_f64 v[124:125], v[194:195], v[196:197]
	v_add_f64 v[130:131], v[208:209], v[210:211]
	v_fma_f64 v[138:139], v[222:223], s[6:7], v[174:175]
	v_fma_f64 v[162:163], v[226:227], s[12:13], v[180:181]
	v_add_f64 v[126:127], v[200:201], v[202:203]
	;; [unrolled: 4-line block ×3, first 2 shown]
	v_fma_f64 v[160:161], v[220:221], s[12:13], v[0:1]
	v_fma_f64 v[166:167], v[224:225], s[6:7], v[2:3]
	v_fma_f64 v[140:141], v[222:223], s[12:13], v[58:59]
	v_fma_f64 v[128:129], v[226:227], s[6:7], v[128:129]
	v_fma_f64 v[62:63], v[104:105], s[4:5], v[86:87]
	v_fma_f64 v[0:1], v[12:13], s[4:5], v[100:101]
	v_fma_f64 v[4:5], v[14:15], s[4:5], v[108:109]
	v_fma_f64 v[2:3], v[32:33], s[4:5], v[110:111]
	v_fma_f64 v[86:87], v[120:121], s[4:5], v[94:95]
	v_fma_f64 v[94:95], v[122:123], s[4:5], v[6:7]
	v_fma_f64 v[6:7], v[34:35], s[4:5], v[116:117]
	v_fma_f64 v[56:57], v[230:231], s[4:5], v[76:77]
	v_fma_f64 v[58:59], v[104:105], s[4:5], v[84:85]
	v_fma_f64 v[72:73], v[102:103], s[4:5], v[80:81]
	v_fma_f64 v[74:75], v[106:107], s[4:5], v[96:97]
	v_fma_f64 v[60:61], v[230:231], s[4:5], v[78:79]
	v_fma_f64 v[76:77], v[102:103], s[4:5], v[82:83]
	v_fma_f64 v[78:79], v[106:107], s[4:5], v[98:99]
	v_fma_f64 v[80:81], v[114:115], s[4:5], v[88:89]
	v_fma_f64 v[82:83], v[120:121], s[4:5], v[90:91]
	v_fma_f64 v[88:89], v[118:119], s[4:5], v[134:135]
	v_fma_f64 v[90:91], v[122:123], s[4:5], v[112:113]
	v_fma_f64 v[84:85], v[114:115], s[4:5], v[92:93]
	v_fma_f64 v[92:93], v[118:119], s[4:5], v[136:137]
	v_add_f64 v[54:55], v[178:179], v[54:55]
	v_fma_f64 v[96:97], v[124:125], s[4:5], v[138:139]
	v_fma_f64 v[98:99], v[130:131], s[4:5], v[162:163]
	;; [unrolled: 1-line block ×8, first 2 shown]
	v_lshlrev_b32_sdwa v112, v157, v159 dst_sel:DWORD dst_unused:UNUSED_PAD src0_sel:DWORD src1_sel:BYTE_0
	v_add3_u32 v113, v232, v235, v150
	v_add3_u32 v112, v233, v112, v150
	ds_write_b128 v234, v[44:47]
	ds_write_b128 v234, v[56:59] offset:80
	ds_write_b128 v234, v[72:75] offset:160
	ds_write_b128 v234, v[76:79] offset:240
	ds_write_b128 v234, v[60:63] offset:320
	ds_write_b128 v113, v[48:51]
	ds_write_b128 v113, v[80:83] offset:80
	ds_write_b128 v113, v[88:91] offset:160
	ds_write_b128 v113, v[92:95] offset:240
	ds_write_b128 v113, v[84:87] offset:320
	;; [unrolled: 5-line block ×3, first 2 shown]
	s_and_saveexec_b32 s1, s0
	s_cbranch_execz .LBB0_22
; %bb.21:
	v_add_f64 v[10:11], v[10:11], v[70:71]
	v_add_f64 v[8:9], v[8:9], v[68:69]
	v_mul_f64 v[44:45], v[30:31], s[14:15]
	v_mul_f64 v[48:49], v[26:27], s[14:15]
	;; [unrolled: 1-line block ×9, first 2 shown]
	v_add_f64 v[10:11], v[10:11], v[66:67]
	v_add_f64 v[8:9], v[8:9], v[64:65]
	;; [unrolled: 1-line block ×3, first 2 shown]
	v_add_f64 v[38:39], v[38:39], -v[48:49]
	v_add_f64 v[40:41], v[40:41], -v[46:47]
	v_add_f64 v[36:37], v[36:37], v[50:51]
	v_mul_f64 v[44:45], v[14:15], s[4:5]
	v_mul_f64 v[14:15], v[32:33], s[4:5]
	;; [unrolled: 1-line block ×3, first 2 shown]
	v_add_f64 v[22:23], v[10:11], v[22:23]
	v_add_f64 v[8:9], v[8:9], v[20:21]
	v_add_f64 v[28:29], v[42:43], -v[28:29]
	v_add_f64 v[20:21], v[24:25], v[38:39]
	v_add_f64 v[30:31], v[40:41], -v[30:31]
	v_add_f64 v[24:25], v[26:27], v[36:37]
	v_and_b32_e32 v10, 0xff, v153
	v_mul_lo_u16 v10, 0xcd, v10
	v_lshrrev_b16 v26, 10, v10
	v_add_f64 v[18:19], v[22:23], v[18:19]
	v_add_f64 v[16:17], v[8:9], v[16:17]
	;; [unrolled: 1-line block ×6, first 2 shown]
	v_and_b32_e32 v20, 0xffff, v26
	v_lshlrev_b32_sdwa v21, v157, v158 dst_sel:DWORD dst_unused:UNUSED_PAD src0_sel:DWORD src1_sel:WORD_0
	v_mad_u32_u24 v20, 0x190, v20, 0
	v_add3_u32 v20, v20, v21, v150
	ds_write_b128 v20, v[0:3] offset:80
	ds_write_b128 v20, v[4:7] offset:160
	ds_write_b128 v20, v[16:19]
	ds_write_b128 v20, v[8:11] offset:240
	ds_write_b128 v20, v[12:15] offset:320
.LBB0_22:
	s_or_b32 exec_lo, exec_lo, s1
	v_mul_lo_u16 v8, v156, 41
	v_mov_b32_e32 v10, 15
	s_waitcnt lgkmcnt(0)
	s_barrier
	buffer_gl0_inv
	v_lshrrev_b16 v8, 10, v8
	s_mov_b32 s0, 0x667f3bcd
	s_mov_b32 s1, 0xbfe6a09e
	;; [unrolled: 1-line block ×4, first 2 shown]
	v_mul_lo_u16 v9, v8, 25
	s_mov_b32 s6, 0xcf328d46
	s_mov_b32 s7, 0xbfed906b
	;; [unrolled: 1-line block ×4, first 2 shown]
	v_sub_nc_u16 v12, v144, v9
	s_mov_b32 s10, 0xa6aea964
	s_mov_b32 s11, 0x3fd87de2
	;; [unrolled: 1-line block ×4, first 2 shown]
	v_mul_u32_u24_sdwa v9, v12, v10 dst_sel:DWORD dst_unused:UNUSED_PAD src0_sel:BYTE_0 src1_sel:DWORD
	v_lshlrev_b32_sdwa v12, v157, v12 dst_sel:DWORD dst_unused:UNUSED_PAD src0_sel:DWORD src1_sel:BYTE_0
	v_lshlrev_b32_e32 v9, 4, v9
	s_clause 0xe
	global_load_dwordx4 v[13:16], v9, s[8:9] offset:320
	global_load_dwordx4 v[17:20], v9, s[8:9] offset:336
	;; [unrolled: 1-line block ×15, first 2 shown]
	ds_read_b128 v[73:76], v152 offset:1200
	ds_read_b128 v[77:80], v152 offset:2400
	ds_read_b128 v[81:84], v152 offset:3600
	ds_read_b128 v[85:88], v152 offset:4800
	ds_read_b128 v[89:92], v152 offset:6000
	ds_read_b128 v[93:96], v151
	ds_read_b128 v[97:100], v152 offset:7200
	ds_read_b128 v[101:104], v152 offset:8400
	;; [unrolled: 1-line block ×10, first 2 shown]
	s_waitcnt vmcnt(0) lgkmcnt(0)
	s_barrier
	buffer_gl0_inv
	v_mul_f64 v[9:10], v[75:76], v[15:16]
	v_mul_f64 v[15:16], v[73:74], v[15:16]
	;; [unrolled: 1-line block ×30, first 2 shown]
	v_fma_f64 v[9:10], v[73:74], v[13:14], v[9:10]
	v_fma_f64 v[13:14], v[75:76], v[13:14], -v[15:16]
	v_fma_f64 v[15:16], v[77:78], v[17:18], v[137:138]
	v_fma_f64 v[17:18], v[79:80], v[17:18], -v[19:20]
	;; [unrolled: 2-line block ×14, first 2 shown]
	v_fma_f64 v[55:56], v[135:136], v[69:70], -v[71:72]
	v_fma_f64 v[69:70], v[133:134], v[69:70], v[178:179]
	v_and_b32_e32 v103, 0xffff, v8
	v_add_f64 v[39:40], v[93:94], -v[39:40]
	v_add_f64 v[41:42], v[95:96], -v[41:42]
	;; [unrolled: 1-line block ×16, first 2 shown]
	v_fma_f64 v[71:72], v[93:94], 2.0, -v[39:40]
	v_fma_f64 v[73:74], v[95:96], 2.0, -v[41:42]
	;; [unrolled: 1-line block ×3, first 2 shown]
	v_add_f64 v[75:76], v[39:40], v[57:58]
	v_add_f64 v[43:44], v[41:42], -v[43:44]
	v_fma_f64 v[25:26], v[25:26], 2.0, -v[57:58]
	v_add_f64 v[79:80], v[49:50], -v[51:52]
	v_add_f64 v[77:78], v[59:60], v[65:66]
	v_fma_f64 v[15:16], v[15:16], 2.0, -v[59:60]
	v_fma_f64 v[17:18], v[17:18], 2.0, -v[49:50]
	v_add_f64 v[83:84], v[45:46], -v[47:48]
	v_add_f64 v[81:82], v[67:68], v[61:62]
	v_fma_f64 v[31:32], v[31:32], 2.0, -v[51:52]
	v_fma_f64 v[33:34], v[33:34], 2.0, -v[65:66]
	v_add_f64 v[85:86], v[63:64], v[55:56]
	v_add_f64 v[87:88], v[53:54], -v[69:70]
	v_fma_f64 v[9:10], v[9:10], 2.0, -v[67:68]
	v_fma_f64 v[13:14], v[13:14], 2.0, -v[45:46]
	v_fma_f64 v[27:28], v[27:28], 2.0, -v[47:48]
	v_fma_f64 v[29:30], v[29:30], 2.0, -v[61:62]
	v_fma_f64 v[19:20], v[19:20], 2.0, -v[63:64]
	v_fma_f64 v[21:22], v[21:22], 2.0, -v[53:54]
	v_fma_f64 v[35:36], v[35:36], 2.0, -v[69:70]
	v_fma_f64 v[37:38], v[37:38], 2.0, -v[55:56]
	v_add_f64 v[23:24], v[71:72], -v[23:24]
	v_fma_f64 v[39:40], v[39:40], 2.0, -v[75:76]
	v_fma_f64 v[41:42], v[41:42], 2.0, -v[43:44]
	v_add_f64 v[25:26], v[73:74], -v[25:26]
	v_fma_f64 v[49:50], v[49:50], 2.0, -v[79:80]
	v_fma_f64 v[47:48], v[59:60], 2.0, -v[77:78]
	v_fma_f64 v[57:58], v[77:78], s[4:5], v[75:76]
	v_fma_f64 v[59:60], v[79:80], s[4:5], v[43:44]
	v_fma_f64 v[45:46], v[45:46], 2.0, -v[83:84]
	v_fma_f64 v[51:52], v[67:68], 2.0, -v[81:82]
	v_add_f64 v[31:32], v[15:16], -v[31:32]
	v_add_f64 v[33:34], v[17:18], -v[33:34]
	v_fma_f64 v[55:56], v[63:64], 2.0, -v[85:86]
	v_fma_f64 v[53:54], v[53:54], 2.0, -v[87:88]
	v_fma_f64 v[61:62], v[85:86], s[4:5], v[81:82]
	v_fma_f64 v[63:64], v[87:88], s[4:5], v[83:84]
	v_add_f64 v[27:28], v[9:10], -v[27:28]
	v_add_f64 v[29:30], v[13:14], -v[29:30]
	;; [unrolled: 1-line block ×4, first 2 shown]
	v_fma_f64 v[71:72], v[71:72], 2.0, -v[23:24]
	v_fma_f64 v[73:74], v[73:74], 2.0, -v[25:26]
	v_fma_f64 v[67:68], v[49:50], s[0:1], v[41:42]
	v_fma_f64 v[65:66], v[47:48], s[0:1], v[39:40]
	;; [unrolled: 1-line block ×4, first 2 shown]
	v_fma_f64 v[15:16], v[15:16], 2.0, -v[31:32]
	v_fma_f64 v[17:18], v[17:18], 2.0, -v[33:34]
	v_fma_f64 v[69:70], v[55:56], s[0:1], v[51:52]
	v_fma_f64 v[89:90], v[53:54], s[0:1], v[45:46]
	v_add_f64 v[91:92], v[23:24], v[33:34]
	v_add_f64 v[93:94], v[25:26], -v[31:32]
	v_fma_f64 v[9:10], v[9:10], 2.0, -v[27:28]
	v_fma_f64 v[13:14], v[13:14], 2.0, -v[29:30]
	;; [unrolled: 1-line block ×4, first 2 shown]
	v_add_f64 v[31:32], v[27:28], v[37:38]
	v_add_f64 v[33:34], v[29:30], -v[35:36]
	v_fma_f64 v[35:36], v[87:88], s[4:5], v[61:62]
	v_fma_f64 v[37:38], v[85:86], s[0:1], v[63:64]
	;; [unrolled: 1-line block ×6, first 2 shown]
	v_add_f64 v[53:54], v[71:72], -v[15:16]
	v_add_f64 v[55:56], v[73:74], -v[17:18]
	v_fma_f64 v[61:62], v[23:24], 2.0, -v[91:92]
	v_fma_f64 v[63:64], v[25:26], 2.0, -v[93:94]
	v_fma_f64 v[69:70], v[75:76], 2.0, -v[57:58]
	v_fma_f64 v[75:76], v[43:44], 2.0, -v[59:60]
	v_add_f64 v[15:16], v[9:10], -v[19:20]
	v_add_f64 v[17:18], v[13:14], -v[21:22]
	v_fma_f64 v[27:28], v[27:28], 2.0, -v[31:32]
	v_fma_f64 v[25:26], v[29:30], 2.0, -v[33:34]
	;; [unrolled: 1-line block ×6, first 2 shown]
	v_fma_f64 v[19:20], v[31:32], s[4:5], v[91:92]
	v_fma_f64 v[21:22], v[33:34], s[4:5], v[93:94]
	;; [unrolled: 1-line block ×3, first 2 shown]
	v_fma_f64 v[39:40], v[51:52], 2.0, -v[47:48]
	v_fma_f64 v[41:42], v[45:46], 2.0, -v[49:50]
	v_fma_f64 v[45:46], v[37:38], s[14:15], v[59:60]
	v_fma_f64 v[71:72], v[71:72], 2.0, -v[53:54]
	v_fma_f64 v[73:74], v[73:74], 2.0, -v[55:56]
	v_fma_f64 v[95:96], v[47:48], s[10:11], v[65:66]
	v_fma_f64 v[97:98], v[49:50], s[10:11], v[67:68]
	v_fma_f64 v[51:52], v[9:10], 2.0, -v[15:16]
	v_fma_f64 v[81:82], v[13:14], 2.0, -v[17:18]
	v_fma_f64 v[83:84], v[27:28], s[0:1], v[61:62]
	v_fma_f64 v[85:86], v[25:26], s[0:1], v[63:64]
	;; [unrolled: 1-line block ×4, first 2 shown]
	v_add_f64 v[13:14], v[53:54], v[17:18]
	v_add_f64 v[15:16], v[55:56], -v[15:16]
	v_fma_f64 v[17:18], v[33:34], s[4:5], v[19:20]
	v_fma_f64 v[19:20], v[31:32], s[0:1], v[21:22]
	;; [unrolled: 1-line block ×8, first 2 shown]
	v_add_f64 v[21:22], v[71:72], -v[51:52]
	v_add_f64 v[23:24], v[73:74], -v[81:82]
	v_fma_f64 v[25:26], v[25:26], s[4:5], v[83:84]
	v_fma_f64 v[27:28], v[27:28], s[0:1], v[85:86]
	;; [unrolled: 1-line block ×4, first 2 shown]
	v_mad_u32_u24 v81, 0x1900, v103, 0
	v_fma_f64 v[43:44], v[55:56], 2.0, -v[15:16]
	v_fma_f64 v[45:46], v[91:92], 2.0, -v[17:18]
	;; [unrolled: 1-line block ×4, first 2 shown]
	v_add3_u32 v12, v81, v12, v150
	v_cmp_gt_u32_e64 s0, 25, v144
	v_fma_f64 v[37:38], v[41:42], s[10:11], v[99:100]
	v_fma_f64 v[39:40], v[39:40], s[12:13], v[101:102]
	v_fma_f64 v[41:42], v[53:54], 2.0, -v[13:14]
	v_fma_f64 v[51:52], v[59:60], 2.0, -v[10:11]
	;; [unrolled: 1-line block ×12, first 2 shown]
	ds_write_b128 v12, v[13:16] offset:4800
	ds_write_b128 v12, v[17:20] offset:5600
	;; [unrolled: 1-line block ×10, first 2 shown]
	ds_write_b128 v12, v[53:56]
	ds_write_b128 v12, v[57:60] offset:800
	ds_write_b128 v12, v[61:64] offset:1200
	;; [unrolled: 1-line block ×5, first 2 shown]
	s_waitcnt lgkmcnt(0)
	s_barrier
	buffer_gl0_inv
	ds_read_b128 v[20:23], v151
	ds_read_b128 v[12:15], v152 offset:1200
	ds_read_b128 v[64:67], v152 offset:12800
	;; [unrolled: 1-line block ×14, first 2 shown]
	s_and_saveexec_b32 s1, s0
	s_cbranch_execz .LBB0_24
; %bb.23:
	ds_read_b128 v[8:11], v152 offset:6000
	ds_read_b128 v[0:3], v152 offset:12400
	;; [unrolled: 1-line block ×3, first 2 shown]
.LBB0_24:
	s_or_b32 exec_lo, exec_lo, s1
	v_lshlrev_b32_e32 v72, 1, v144
	v_mov_b32_e32 v73, 0
	v_lshlrev_b32_e32 v76, 1, v155
	v_lshlrev_b32_e32 v84, 1, v154
	s_mov_b32 s4, 0xe8584caa
	s_mov_b32 s5, 0xbfebb67a
	v_lshlrev_b64 v[74:75], 4, v[72:73]
	v_mov_b32_e32 v77, v73
	v_mov_b32_e32 v85, v73
	v_add_nc_u32_e32 v72, 0x258, v72
	s_mov_b32 s7, 0x3febb67a
	s_mov_b32 s6, s4
	v_add_co_u32 v78, s1, s8, v74
	v_add_co_ci_u32_e64 v79, s1, s9, v75, s1
	v_lshlrev_b64 v[82:83], 4, v[76:77]
	v_add_co_u32 v74, s1, 0x1800, v78
	v_add_co_ci_u32_e64 v75, s1, 0, v79, s1
	v_add_co_u32 v78, s1, 0x18b0, v78
	v_add_co_ci_u32_e64 v79, s1, 0, v79, s1
	;; [unrolled: 2-line block ×3, first 2 shown]
	v_lshlrev_b64 v[82:83], 4, v[84:85]
	v_add_co_u32 v86, s1, 0x18b0, v88
	v_add_co_ci_u32_e64 v87, s1, 0, v89, s1
	v_lshlrev_b32_e32 v84, 1, v153
	v_add_co_u32 v92, s1, s8, v82
	v_add_co_ci_u32_e64 v93, s1, s9, v83, s1
	v_add_co_u32 v82, s1, 0x1800, v88
	v_add_co_ci_u32_e64 v83, s1, 0, v89, s1
	v_add_co_u32 v90, s1, 0x1800, v92
	v_lshlrev_b64 v[98:99], 4, v[84:85]
	v_add_co_ci_u32_e64 v91, s1, 0, v93, s1
	v_add_co_u32 v94, s1, 0x18b0, v92
	v_add_co_ci_u32_e64 v95, s1, 0, v93, s1
	v_add_co_u32 v100, s1, s8, v98
	v_add_co_ci_u32_e64 v101, s1, s9, v99, s1
	v_lshlrev_b64 v[98:99], 4, v[72:73]
	v_add_co_u32 v102, s1, 0x18b0, v100
	v_add_co_ci_u32_e64 v103, s1, 0, v101, s1
	v_add_co_u32 v100, s1, 0x1800, v100
	v_add_co_ci_u32_e64 v101, s1, 0, v101, s1
	;; [unrolled: 2-line block ×3, first 2 shown]
	s_clause 0x1
	global_load_dwordx4 v[74:77], v[74:75], off offset:176
	global_load_dwordx4 v[78:81], v[78:79], off offset:16
	v_add_co_u32 v106, s1, 0x1800, v72
	v_add_co_ci_u32_e64 v107, s1, 0, v104, s1
	v_add_co_u32 v110, s1, 0x18b0, v72
	s_clause 0x3
	global_load_dwordx4 v[82:85], v[82:83], off offset:176
	global_load_dwordx4 v[86:89], v[86:87], off offset:16
	;; [unrolled: 1-line block ×4, first 2 shown]
	v_add_co_ci_u32_e64 v111, s1, 0, v104, s1
	s_clause 0x3
	global_load_dwordx4 v[98:101], v[100:101], off offset:176
	global_load_dwordx4 v[102:105], v[102:103], off offset:16
	;; [unrolled: 1-line block ×4, first 2 shown]
	v_lshl_add_u32 v72, v149, 4, v145
	s_waitcnt vmcnt(0) lgkmcnt(0)
	s_barrier
	buffer_gl0_inv
	v_mul_f64 v[114:115], v[70:71], v[76:77]
	v_mul_f64 v[76:77], v[68:69], v[76:77]
	;; [unrolled: 1-line block ×20, first 2 shown]
	v_fma_f64 v[68:69], v[68:69], v[74:75], v[114:115]
	v_fma_f64 v[70:71], v[70:71], v[74:75], -v[76:77]
	v_fma_f64 v[64:65], v[64:65], v[78:79], v[116:117]
	v_fma_f64 v[66:67], v[66:67], v[78:79], -v[80:81]
	;; [unrolled: 2-line block ×10, first 2 shown]
	v_add_f64 v[74:75], v[20:21], v[68:69]
	v_add_f64 v[80:81], v[22:23], v[70:71]
	v_add_f64 v[76:77], v[68:69], v[64:65]
	v_add_f64 v[78:79], v[70:71], -v[66:67]
	v_add_f64 v[70:71], v[70:71], v[66:67]
	v_add_f64 v[82:83], v[12:13], v[56:57]
	v_add_f64 v[88:89], v[14:15], v[58:59]
	v_add_f64 v[84:85], v[56:57], v[32:33]
	v_add_f64 v[86:87], v[58:59], -v[34:35]
	v_add_f64 v[58:59], v[58:59], v[34:35]
	v_add_f64 v[96:97], v[30:31], v[38:39]
	;; [unrolled: 1-line block ×3, first 2 shown]
	v_add_f64 v[94:95], v[38:39], -v[50:51]
	v_add_f64 v[38:39], v[38:39], v[50:51]
	v_add_f64 v[90:91], v[28:29], v[36:37]
	v_add_f64 v[98:99], v[36:37], -v[48:49]
	v_add_f64 v[36:37], v[60:61], v[40:41]
	v_add_f64 v[102:103], v[62:63], v[42:43]
	;; [unrolled: 1-line block ×5, first 2 shown]
	v_add_f64 v[104:105], v[62:63], -v[42:43]
	v_add_f64 v[62:63], v[18:19], v[62:63]
	v_add_f64 v[110:111], v[60:61], -v[40:41]
	v_add_f64 v[60:61], v[24:25], v[52:53]
	v_add_f64 v[112:113], v[26:27], v[54:55]
	v_add_f64 v[68:69], v[68:69], -v[64:65]
	v_fma_f64 v[76:77], v[76:77], -0.5, v[20:21]
	v_add_f64 v[114:115], v[54:55], -v[46:47]
	v_fma_f64 v[54:55], v[70:71], -0.5, v[22:23]
	v_add_f64 v[56:57], v[56:57], -v[32:33]
	v_add_f64 v[70:71], v[52:53], -v[44:45]
	v_fma_f64 v[52:53], v[84:85], -0.5, v[12:13]
	v_fma_f64 v[58:59], v[58:59], -0.5, v[14:15]
	v_add_f64 v[12:13], v[74:75], v[64:65]
	v_add_f64 v[14:15], v[80:81], v[66:67]
	v_fma_f64 v[64:65], v[92:93], -0.5, v[28:29]
	v_fma_f64 v[66:67], v[38:39], -0.5, v[30:31]
	;; [unrolled: 1-line block ×4, first 2 shown]
	v_add_f64 v[20:21], v[82:83], v[32:33]
	v_fma_f64 v[82:83], v[106:107], -0.5, v[24:25]
	v_fma_f64 v[84:85], v[108:109], -0.5, v[26:27]
	v_add_f64 v[22:23], v[88:89], v[34:35]
	v_add_f64 v[16:17], v[90:91], v[48:49]
	;; [unrolled: 1-line block ×7, first 2 shown]
	v_fma_f64 v[32:33], v[78:79], s[4:5], v[76:77]
	v_fma_f64 v[34:35], v[68:69], s[6:7], v[54:55]
	;; [unrolled: 1-line block ×20, first 2 shown]
	ds_write_b128 v152, v[12:15]
	ds_write_b128 v152, v[20:23] offset:1200
	ds_write_b128 v152, v[16:19] offset:2400
	;; [unrolled: 1-line block ×14, first 2 shown]
	s_and_saveexec_b32 s1, s0
	s_cbranch_execz .LBB0_26
; %bb.25:
	v_mov_b32_e32 v12, 0x177
	v_cndmask_b32_e64 v12, 0xffffffe7, v12, s0
	v_add_lshl_u32 v72, v144, v12, 1
	v_lshlrev_b64 v[12:13], 4, v[72:73]
	v_add_co_u32 v14, s0, s8, v12
	v_add_co_ci_u32_e64 v15, s0, s9, v13, s0
	v_add_co_u32 v12, s0, 0x1800, v14
	v_add_co_ci_u32_e64 v13, s0, 0, v15, s0
	;; [unrolled: 2-line block ×3, first 2 shown]
	s_clause 0x1
	global_load_dwordx4 v[12:15], v[12:13], off offset:176
	global_load_dwordx4 v[16:19], v[16:17], off offset:16
	s_waitcnt vmcnt(1)
	v_mul_f64 v[20:21], v[0:1], v[14:15]
	s_waitcnt vmcnt(0)
	v_mul_f64 v[22:23], v[4:5], v[18:19]
	v_mul_f64 v[14:15], v[2:3], v[14:15]
	;; [unrolled: 1-line block ×3, first 2 shown]
	v_fma_f64 v[2:3], v[2:3], v[12:13], -v[20:21]
	v_fma_f64 v[6:7], v[6:7], v[16:17], -v[22:23]
	v_fma_f64 v[0:1], v[0:1], v[12:13], v[14:15]
	v_fma_f64 v[4:5], v[4:5], v[16:17], v[18:19]
	v_add_f64 v[18:19], v[10:11], v[2:3]
	v_add_f64 v[12:13], v[2:3], v[6:7]
	;; [unrolled: 1-line block ×3, first 2 shown]
	v_add_f64 v[16:17], v[0:1], -v[4:5]
	v_add_f64 v[0:1], v[8:9], v[0:1]
	v_fma_f64 v[10:11], v[12:13], -0.5, v[10:11]
	v_add_f64 v[12:13], v[2:3], -v[6:7]
	v_fma_f64 v[14:15], v[14:15], -0.5, v[8:9]
	v_add_f64 v[2:3], v[18:19], v[6:7]
	v_add_f64 v[0:1], v[0:1], v[4:5]
	v_fma_f64 v[6:7], v[16:17], s[4:5], v[10:11]
	v_fma_f64 v[10:11], v[16:17], s[6:7], v[10:11]
	;; [unrolled: 1-line block ×4, first 2 shown]
	ds_write_b128 v152, v[0:3] offset:6000
	ds_write_b128 v152, v[8:11] offset:12400
	;; [unrolled: 1-line block ×3, first 2 shown]
.LBB0_26:
	s_or_b32 exec_lo, exec_lo, s1
	s_waitcnt lgkmcnt(0)
	s_barrier
	buffer_gl0_inv
	s_and_saveexec_b32 s0, vcc_lo
	s_cbranch_execz .LBB0_28
; %bb.27:
	v_lshl_add_u32 v30, v144, 4, v148
	v_mov_b32_e32 v145, 0
	v_add_co_u32 v31, vcc_lo, s2, v146
	v_add_nc_u32_e32 v8, 0x4b, v144
	ds_read_b128 v[0:3], v30
	ds_read_b128 v[4:7], v30 offset:1200
	v_lshlrev_b64 v[10:11], 4, v[144:145]
	v_mov_b32_e32 v9, v145
	v_add_co_ci_u32_e32 v32, vcc_lo, s3, v147, vcc_lo
	v_add_nc_u32_e32 v16, 0x96, v144
	v_mov_b32_e32 v17, v145
	v_add_co_u32 v20, vcc_lo, v31, v10
	v_lshlrev_b64 v[22:23], 4, v[8:9]
	v_add_nc_u32_e32 v18, 0xe1, v144
	v_mov_b32_e32 v19, v145
	v_add_co_ci_u32_e32 v21, vcc_lo, v32, v11, vcc_lo
	ds_read_b128 v[8:11], v30 offset:2400
	ds_read_b128 v[12:15], v30 offset:3600
	v_lshlrev_b64 v[16:17], 4, v[16:17]
	v_lshlrev_b64 v[18:19], 4, v[18:19]
	v_add_nc_u32_e32 v24, 0x12c, v144
	v_mov_b32_e32 v25, v145
	s_waitcnt lgkmcnt(3)
	global_store_dwordx4 v[20:21], v[0:3], off
	v_add_co_u32 v20, vcc_lo, v31, v22
	v_add_co_ci_u32_e32 v21, vcc_lo, v32, v23, vcc_lo
	v_add_co_u32 v22, vcc_lo, v31, v16
	v_add_co_ci_u32_e32 v23, vcc_lo, v32, v17, vcc_lo
	v_add_co_u32 v26, vcc_lo, v31, v18
	ds_read_b128 v[0:3], v30 offset:4800
	v_add_co_ci_u32_e32 v27, vcc_lo, v32, v19, vcc_lo
	ds_read_b128 v[16:19], v30 offset:6000
	v_add_nc_u32_e32 v28, 0x177, v144
	v_mov_b32_e32 v29, v145
	v_lshlrev_b64 v[24:25], 4, v[24:25]
	s_waitcnt lgkmcnt(4)
	global_store_dwordx4 v[20:21], v[4:7], off
	s_waitcnt lgkmcnt(3)
	global_store_dwordx4 v[22:23], v[8:11], off
	;; [unrolled: 2-line block ×3, first 2 shown]
	v_add_nc_u32_e32 v8, 0x1c2, v144
	v_mov_b32_e32 v9, v145
	v_lshlrev_b64 v[4:5], 4, v[28:29]
	v_add_nc_u32_e32 v10, 0x20d, v144
	v_add_co_u32 v6, vcc_lo, v31, v24
	v_add_co_ci_u32_e32 v7, vcc_lo, v32, v25, vcc_lo
	v_add_co_u32 v4, vcc_lo, v31, v4
	v_add_co_ci_u32_e32 v5, vcc_lo, v32, v5, vcc_lo
	v_mov_b32_e32 v11, v145
	s_waitcnt lgkmcnt(1)
	global_store_dwordx4 v[6:7], v[0:3], off
	v_lshlrev_b64 v[12:13], 4, v[8:9]
	s_waitcnt lgkmcnt(0)
	global_store_dwordx4 v[4:5], v[16:19], off
	ds_read_b128 v[0:3], v30 offset:7200
	ds_read_b128 v[4:7], v30 offset:8400
	v_lshlrev_b64 v[14:15], 4, v[10:11]
	ds_read_b128 v[8:11], v30 offset:9600
	v_add_nc_u32_e32 v16, 0x258, v144
	v_mov_b32_e32 v17, v145
	v_add_co_u32 v20, vcc_lo, v31, v12
	v_add_co_ci_u32_e32 v21, vcc_lo, v32, v13, vcc_lo
	v_lshlrev_b64 v[12:13], 4, v[16:17]
	v_add_nc_u32_e32 v16, 0x2a3, v144
	v_add_co_u32 v22, vcc_lo, v31, v14
	v_add_co_ci_u32_e32 v23, vcc_lo, v32, v15, vcc_lo
	v_lshlrev_b64 v[26:27], 4, v[16:17]
	ds_read_b128 v[16:19], v30 offset:12000
	v_add_co_u32 v24, vcc_lo, v31, v12
	v_add_nc_u32_e32 v28, 0x2ee, v144
	v_add_co_ci_u32_e32 v25, vcc_lo, v32, v13, vcc_lo
	ds_read_b128 v[12:15], v30 offset:10800
	s_waitcnt lgkmcnt(4)
	global_store_dwordx4 v[20:21], v[0:3], off
	s_waitcnt lgkmcnt(3)
	global_store_dwordx4 v[22:23], v[4:7], off
	;; [unrolled: 2-line block ×3, first 2 shown]
	v_lshlrev_b64 v[0:1], 4, v[28:29]
	v_add_co_u32 v2, vcc_lo, v31, v26
	v_add_co_ci_u32_e32 v3, vcc_lo, v32, v27, vcc_lo
	v_add_nc_u32_e32 v4, 0x339, v144
	v_mov_b32_e32 v5, v145
	v_add_co_u32 v6, vcc_lo, v31, v0
	v_add_co_ci_u32_e32 v7, vcc_lo, v32, v1, vcc_lo
	v_add_nc_u32_e32 v8, 0x384, v144
	v_mov_b32_e32 v9, v145
	v_lshlrev_b64 v[4:5], 4, v[4:5]
	s_waitcnt lgkmcnt(1)
	global_store_dwordx4 v[6:7], v[16:19], off
	v_add_nc_u32_e32 v24, 0x41a, v144
	v_mov_b32_e32 v25, v145
	v_lshlrev_b64 v[6:7], 4, v[8:9]
	s_waitcnt lgkmcnt(0)
	global_store_dwordx4 v[2:3], v[12:15], off
	v_add_co_u32 v20, vcc_lo, v31, v4
	v_add_nc_u32_e32 v12, 0x3cf, v144
	v_mov_b32_e32 v13, v145
	v_add_co_ci_u32_e32 v21, vcc_lo, v32, v5, vcc_lo
	v_add_co_u32 v22, vcc_lo, v31, v6
	ds_read_b128 v[0:3], v30 offset:13200
	v_add_co_ci_u32_e32 v23, vcc_lo, v32, v7, vcc_lo
	ds_read_b128 v[4:7], v30 offset:14400
	ds_read_b128 v[8:11], v30 offset:15600
	v_lshlrev_b64 v[26:27], 4, v[12:13]
	ds_read_b128 v[12:15], v30 offset:16800
	ds_read_b128 v[16:19], v30 offset:18000
	v_add_nc_u32_e32 v144, 0x465, v144
	v_lshlrev_b64 v[24:25], 4, v[24:25]
	v_add_co_u32 v26, vcc_lo, v31, v26
	v_lshlrev_b64 v[28:29], 4, v[144:145]
	v_add_co_ci_u32_e32 v27, vcc_lo, v32, v27, vcc_lo
	v_add_co_u32 v24, vcc_lo, v31, v24
	v_add_co_ci_u32_e32 v25, vcc_lo, v32, v25, vcc_lo
	v_add_co_u32 v28, vcc_lo, v31, v28
	v_add_co_ci_u32_e32 v29, vcc_lo, v32, v29, vcc_lo
	s_waitcnt lgkmcnt(4)
	global_store_dwordx4 v[20:21], v[0:3], off
	s_waitcnt lgkmcnt(3)
	global_store_dwordx4 v[22:23], v[4:7], off
	s_waitcnt lgkmcnt(2)
	global_store_dwordx4 v[26:27], v[8:11], off
	s_waitcnt lgkmcnt(1)
	global_store_dwordx4 v[24:25], v[12:15], off
	s_waitcnt lgkmcnt(0)
	global_store_dwordx4 v[28:29], v[16:19], off
.LBB0_28:
	s_endpgm
	.section	.rodata,"a",@progbits
	.p2align	6, 0x0
	.amdhsa_kernel fft_rtc_back_len1200_factors_5_5_16_3_wgs_225_tpt_75_halfLds_dp_ip_CI_unitstride_sbrr_C2R_dirReg
		.amdhsa_group_segment_fixed_size 0
		.amdhsa_private_segment_fixed_size 0
		.amdhsa_kernarg_size 88
		.amdhsa_user_sgpr_count 6
		.amdhsa_user_sgpr_private_segment_buffer 1
		.amdhsa_user_sgpr_dispatch_ptr 0
		.amdhsa_user_sgpr_queue_ptr 0
		.amdhsa_user_sgpr_kernarg_segment_ptr 1
		.amdhsa_user_sgpr_dispatch_id 0
		.amdhsa_user_sgpr_flat_scratch_init 0
		.amdhsa_user_sgpr_private_segment_size 0
		.amdhsa_wavefront_size32 1
		.amdhsa_uses_dynamic_stack 0
		.amdhsa_system_sgpr_private_segment_wavefront_offset 0
		.amdhsa_system_sgpr_workgroup_id_x 1
		.amdhsa_system_sgpr_workgroup_id_y 0
		.amdhsa_system_sgpr_workgroup_id_z 0
		.amdhsa_system_sgpr_workgroup_info 0
		.amdhsa_system_vgpr_workitem_id 0
		.amdhsa_next_free_vgpr 236
		.amdhsa_next_free_sgpr 21
		.amdhsa_reserve_vcc 1
		.amdhsa_reserve_flat_scratch 0
		.amdhsa_float_round_mode_32 0
		.amdhsa_float_round_mode_16_64 0
		.amdhsa_float_denorm_mode_32 3
		.amdhsa_float_denorm_mode_16_64 3
		.amdhsa_dx10_clamp 1
		.amdhsa_ieee_mode 1
		.amdhsa_fp16_overflow 0
		.amdhsa_workgroup_processor_mode 1
		.amdhsa_memory_ordered 1
		.amdhsa_forward_progress 0
		.amdhsa_shared_vgpr_count 0
		.amdhsa_exception_fp_ieee_invalid_op 0
		.amdhsa_exception_fp_denorm_src 0
		.amdhsa_exception_fp_ieee_div_zero 0
		.amdhsa_exception_fp_ieee_overflow 0
		.amdhsa_exception_fp_ieee_underflow 0
		.amdhsa_exception_fp_ieee_inexact 0
		.amdhsa_exception_int_div_zero 0
	.end_amdhsa_kernel
	.text
.Lfunc_end0:
	.size	fft_rtc_back_len1200_factors_5_5_16_3_wgs_225_tpt_75_halfLds_dp_ip_CI_unitstride_sbrr_C2R_dirReg, .Lfunc_end0-fft_rtc_back_len1200_factors_5_5_16_3_wgs_225_tpt_75_halfLds_dp_ip_CI_unitstride_sbrr_C2R_dirReg
                                        ; -- End function
	.section	.AMDGPU.csdata,"",@progbits
; Kernel info:
; codeLenInByte = 14064
; NumSgprs: 23
; NumVgprs: 236
; ScratchSize: 0
; MemoryBound: 0
; FloatMode: 240
; IeeeMode: 1
; LDSByteSize: 0 bytes/workgroup (compile time only)
; SGPRBlocks: 2
; VGPRBlocks: 29
; NumSGPRsForWavesPerEU: 23
; NumVGPRsForWavesPerEU: 236
; Occupancy: 4
; WaveLimiterHint : 1
; COMPUTE_PGM_RSRC2:SCRATCH_EN: 0
; COMPUTE_PGM_RSRC2:USER_SGPR: 6
; COMPUTE_PGM_RSRC2:TRAP_HANDLER: 0
; COMPUTE_PGM_RSRC2:TGID_X_EN: 1
; COMPUTE_PGM_RSRC2:TGID_Y_EN: 0
; COMPUTE_PGM_RSRC2:TGID_Z_EN: 0
; COMPUTE_PGM_RSRC2:TIDIG_COMP_CNT: 0
	.text
	.p2alignl 6, 3214868480
	.fill 48, 4, 3214868480
	.type	__hip_cuid_12f0bca371fd8db7,@object ; @__hip_cuid_12f0bca371fd8db7
	.section	.bss,"aw",@nobits
	.globl	__hip_cuid_12f0bca371fd8db7
__hip_cuid_12f0bca371fd8db7:
	.byte	0                               ; 0x0
	.size	__hip_cuid_12f0bca371fd8db7, 1

	.ident	"AMD clang version 19.0.0git (https://github.com/RadeonOpenCompute/llvm-project roc-6.4.0 25133 c7fe45cf4b819c5991fe208aaa96edf142730f1d)"
	.section	".note.GNU-stack","",@progbits
	.addrsig
	.addrsig_sym __hip_cuid_12f0bca371fd8db7
	.amdgpu_metadata
---
amdhsa.kernels:
  - .args:
      - .actual_access:  read_only
        .address_space:  global
        .offset:         0
        .size:           8
        .value_kind:     global_buffer
      - .offset:         8
        .size:           8
        .value_kind:     by_value
      - .actual_access:  read_only
        .address_space:  global
        .offset:         16
        .size:           8
        .value_kind:     global_buffer
      - .actual_access:  read_only
        .address_space:  global
        .offset:         24
        .size:           8
        .value_kind:     global_buffer
      - .offset:         32
        .size:           8
        .value_kind:     by_value
      - .actual_access:  read_only
        .address_space:  global
        .offset:         40
        .size:           8
        .value_kind:     global_buffer
      - .actual_access:  read_only
        .address_space:  global
        .offset:         48
        .size:           8
        .value_kind:     global_buffer
      - .offset:         56
        .size:           4
        .value_kind:     by_value
      - .actual_access:  read_only
        .address_space:  global
        .offset:         64
        .size:           8
        .value_kind:     global_buffer
      - .actual_access:  read_only
        .address_space:  global
        .offset:         72
        .size:           8
        .value_kind:     global_buffer
      - .address_space:  global
        .offset:         80
        .size:           8
        .value_kind:     global_buffer
    .group_segment_fixed_size: 0
    .kernarg_segment_align: 8
    .kernarg_segment_size: 88
    .language:       OpenCL C
    .language_version:
      - 2
      - 0
    .max_flat_workgroup_size: 225
    .name:           fft_rtc_back_len1200_factors_5_5_16_3_wgs_225_tpt_75_halfLds_dp_ip_CI_unitstride_sbrr_C2R_dirReg
    .private_segment_fixed_size: 0
    .sgpr_count:     23
    .sgpr_spill_count: 0
    .symbol:         fft_rtc_back_len1200_factors_5_5_16_3_wgs_225_tpt_75_halfLds_dp_ip_CI_unitstride_sbrr_C2R_dirReg.kd
    .uniform_work_group_size: 1
    .uses_dynamic_stack: false
    .vgpr_count:     236
    .vgpr_spill_count: 0
    .wavefront_size: 32
    .workgroup_processor_mode: 1
amdhsa.target:   amdgcn-amd-amdhsa--gfx1030
amdhsa.version:
  - 1
  - 2
...

	.end_amdgpu_metadata
